;; amdgpu-corpus repo=triton-lang/triton kind=triton arch=gfx1201 opt=O3 lang=triton
	.amdgcn_target "amdgcn-amd-amdhsa--gfx1201"
	.amdhsa_code_object_version 5
	.text
	.globl	layer_norm_fwd_kernel           ; -- Begin function layer_norm_fwd_kernel
	.p2align	8
	.type	layer_norm_fwd_kernel,@function
layer_norm_fwd_kernel:                  ; @layer_norm_fwd_kernel
.Lfunc_begin0:
	.file	1 "/root/src/amdgpu-assembly/repos/triton-lang__triton-aot" "layer_norm.py"
	.loc	1 7 0                           ; layer_norm.py:7:0
	.cfi_sections .debug_frame
	.cfi_startproc
; %bb.0:
	s_clause 0x2
	s_load_b64 s[8:9], s[0:1], 0x30
	s_load_b64 s[2:3], s[0:1], 0x0
	s_load_b128 s[12:15], s[0:1], 0x10
.Ltmp0:
	.loc	1 28 25 prologue_end            ; layer_norm.py:28:25
	s_bfe_u32 s24, ttmp8, 0x50019
	.loc	1 15 34                         ; layer_norm.py:15:34
	v_and_b32_e32 v4, 31, v0
	s_lshl_b32 s4, s24, 5
	s_delay_alu instid0(SALU_CYCLE_1)
	s_and_b32 s6, s4, 0x60
	s_delay_alu instid0(VALU_DEP_1) | instid1(SALU_CYCLE_1)
	v_or_b32_e32 v8, s6, v4
	v_add_nc_u32_e32 v9, s6, v4
	.loc	1 10 15                         ; layer_norm.py:10:15
	s_wait_kmcnt 0x0
	s_mul_i32 s4, s8, ttmp9
	s_delay_alu instid0(SALU_CYCLE_1) | instskip(NEXT) | instid1(SALU_CYCLE_1)
	.loc	1 10 9 is_stmt 0                ; layer_norm.py:10:9
	s_ashr_i32 s5, s4, 31
	.loc	1 11 9 is_stmt 1                ; layer_norm.py:11:9
	s_lshl_b64 s[20:21], s[4:5], 1
	.loc	1 14 27                         ; layer_norm.py:14:27
	s_cmp_gt_i32 s9, 0
	.loc	1 11 9                          ; layer_norm.py:11:9
	s_add_nc_u64 s[10:11], s[2:3], s[20:21]
	.loc	1 14 27                         ; layer_norm.py:14:27
	s_cselect_b32 s3, -1, 0
	s_cmp_lt_i32 s9, 1
	s_mov_b32 s4, 0
	s_cbranch_scc1 .LBB0_20
; %bb.1:                                ; %.lr.ph.preheader
	.loc	1 0 27 is_stmt 0                ; layer_norm.py:0:27
	v_dual_mov_b32 v5, 0 :: v_dual_mov_b32 v6, 0
	v_dual_mov_b32 v7, 0 :: v_dual_mov_b32 v10, 0
	;; [unrolled: 1-line block ×4, first 2 shown]
	s_branch .LBB0_3
.LBB0_2:                                ;   in Loop: Header=BB0_3 Depth=1
	s_wait_alu depctr_sa_sdst(0)
	s_or_b32 exec_lo, exec_lo, s2
	.loc	1 16 59 is_stmt 1               ; layer_norm.py:16:59
	s_wait_loadcnt 0x0
	v_cvt_f32_f16_e32 v2, v15
	v_cvt_f32_f16_e32 v3, v17
	;; [unrolled: 1-line block ×8, first 2 shown]
	.loc	1 17 17                         ; layer_norm.py:17:17
	v_dual_add_f32 v5, v5, v2 :: v_dual_add_f32 v6, v6, v3
	v_dual_add_f32 v7, v7, v15 :: v_dual_add_f32 v10, v10, v16
	;; [unrolled: 1-line block ×3, first 2 shown]
	s_delay_alu instid0(VALU_DEP_4)
	v_dual_add_f32 v13, v13, v19 :: v_dual_add_f32 v14, v14, v1
	.loc	1 14 27                         ; layer_norm.py:14:27
	s_addk_co_i32 s4, 0x400
	s_wait_alu depctr_sa_sdst(0)
	s_cmp_lt_i32 s4, s9
	s_cbranch_scc0 .LBB0_19
.LBB0_3:                                ; %.lr.ph
                                        ; =>This Inner Loop Header: Depth=1
	.loc	1 15 21                         ; layer_norm.py:15:21
	v_add_nc_u32_e32 v1, s4, v9
	v_mov_b32_e32 v15, 0
	.loc	1 16 20                         ; layer_norm.py:16:20
	s_mov_b32 s2, exec_lo
	s_delay_alu instid0(VALU_DEP_2)
	.loc	1 16 42 is_stmt 0               ; layer_norm.py:16:42
	v_cmpx_gt_i32_e64 s9, v1
	.loc	1 16 20                         ; layer_norm.py:16:20
	s_cbranch_execz .LBB0_5
; %bb.4:                                ;   in Loop: Header=BB0_3 Depth=1
	.loc	1 0 20                          ; layer_norm.py:0:20
	v_ashrrev_i32_e32 v2, 31, v1
	s_delay_alu instid0(VALU_DEP_1) | instskip(NEXT) | instid1(VALU_DEP_1)
	v_lshlrev_b64_e32 v[2:3], 1, v[1:2]
	v_add_co_u32 v2, vcc_lo, s10, v2
	s_wait_alu depctr_va_vcc(0)
	s_delay_alu instid0(VALU_DEP_2)
	v_add_co_ci_u32_e64 v3, null, s11, v3, vcc_lo
	.loc	1 16 20                         ; layer_norm.py:16:20
	global_load_u16 v15, v[2:3], off
.LBB0_5:                                ;   in Loop: Header=BB0_3 Depth=1
	.loc	1 0 20                          ; layer_norm.py:0:20
	s_wait_alu depctr_sa_sdst(0)
	s_or_b32 exec_lo, exec_lo, s2
	.loc	1 16 24                         ; layer_norm.py:16:24
	s_ashr_i32 s2, s4, 31
	v_add_co_u32 v2, s5, s4, v8
	s_wait_alu depctr_sa_sdst(0) depctr_va_sdst(0)
	v_add_co_ci_u32_e64 v3, null, s2, 0, s5
	v_dual_mov_b32 v16, 0 :: v_dual_add_nc_u32 v17, 0x80, v1
	s_delay_alu instid0(VALU_DEP_2) | instskip(NEXT) | instid1(VALU_DEP_2)
	v_lshlrev_b64_e32 v[2:3], 1, v[2:3]
	.loc	1 16 42                         ; layer_norm.py:16:42
	v_cmp_gt_i32_e32 vcc_lo, s9, v17
	v_mov_b32_e32 v17, 0
	s_delay_alu instid0(VALU_DEP_3) | instskip(SKIP_1) | instid1(VALU_DEP_4)
	.loc	1 16 24                         ; layer_norm.py:16:24
	v_add_co_u32 v2, s2, s10, v2
	s_wait_alu depctr_va_sdst(0)
	v_add_co_ci_u32_e64 v3, null, s11, v3, s2
	.loc	1 16 20                         ; layer_norm.py:16:20
	s_and_saveexec_b32 s2, vcc_lo
	s_cbranch_execz .LBB0_7
; %bb.6:                                ;   in Loop: Header=BB0_3 Depth=1
	global_load_u16 v17, v[2:3], off offset:256
.LBB0_7:                                ;   in Loop: Header=BB0_3 Depth=1
	.loc	1 0 20                          ; layer_norm.py:0:20
	s_wait_alu depctr_sa_sdst(0)
	s_or_b32 exec_lo, exec_lo, s2
	.loc	1 15 21 is_stmt 1               ; layer_norm.py:15:21
	v_add_nc_u32_e32 v18, 0x100, v1
	.loc	1 16 20                         ; layer_norm.py:16:20
	s_mov_b32 s2, exec_lo
	s_delay_alu instid0(VALU_DEP_1)
	.loc	1 16 42 is_stmt 0               ; layer_norm.py:16:42
	v_cmpx_gt_i32_e64 s9, v18
	.loc	1 16 20                         ; layer_norm.py:16:20
	s_cbranch_execz .LBB0_9
; %bb.8:                                ;   in Loop: Header=BB0_3 Depth=1
	global_load_u16 v16, v[2:3], off offset:512
.LBB0_9:                                ;   in Loop: Header=BB0_3 Depth=1
	.loc	1 0 20                          ; layer_norm.py:0:20
	s_wait_alu depctr_sa_sdst(0)
	s_or_b32 exec_lo, exec_lo, s2
	v_dual_mov_b32 v18, 0 :: v_dual_add_nc_u32 v19, 0x180, v1
	s_delay_alu instid0(VALU_DEP_1)
	.loc	1 16 42                         ; layer_norm.py:16:42
	v_cmp_gt_i32_e32 vcc_lo, s9, v19
	v_mov_b32_e32 v19, 0
	.loc	1 16 20                         ; layer_norm.py:16:20
	s_and_saveexec_b32 s2, vcc_lo
	s_cbranch_execz .LBB0_11
; %bb.10:                               ;   in Loop: Header=BB0_3 Depth=1
	global_load_u16 v19, v[2:3], off offset:768
.LBB0_11:                               ;   in Loop: Header=BB0_3 Depth=1
	.loc	1 0 20                          ; layer_norm.py:0:20
	s_wait_alu depctr_sa_sdst(0)
	s_or_b32 exec_lo, exec_lo, s2
	.loc	1 15 21 is_stmt 1               ; layer_norm.py:15:21
	v_add_nc_u32_e32 v20, 0x200, v1
	.loc	1 16 20                         ; layer_norm.py:16:20
	s_mov_b32 s2, exec_lo
	s_delay_alu instid0(VALU_DEP_1)
	.loc	1 16 42 is_stmt 0               ; layer_norm.py:16:42
	v_cmpx_gt_i32_e64 s9, v20
	.loc	1 16 20                         ; layer_norm.py:16:20
	s_cbranch_execz .LBB0_13
; %bb.12:                               ;   in Loop: Header=BB0_3 Depth=1
	global_load_u16 v18, v[2:3], off offset:1024
.LBB0_13:                               ;   in Loop: Header=BB0_3 Depth=1
	.loc	1 0 20                          ; layer_norm.py:0:20
	s_wait_alu depctr_sa_sdst(0)
	s_or_b32 exec_lo, exec_lo, s2
	v_dual_mov_b32 v20, 0 :: v_dual_add_nc_u32 v21, 0x280, v1
	s_delay_alu instid0(VALU_DEP_1)
	.loc	1 16 42                         ; layer_norm.py:16:42
	v_cmp_gt_i32_e32 vcc_lo, s9, v21
	v_mov_b32_e32 v21, 0
	.loc	1 16 20                         ; layer_norm.py:16:20
	s_and_saveexec_b32 s2, vcc_lo
	s_cbranch_execz .LBB0_15
; %bb.14:                               ;   in Loop: Header=BB0_3 Depth=1
	global_load_u16 v21, v[2:3], off offset:1280
.LBB0_15:                               ;   in Loop: Header=BB0_3 Depth=1
	.loc	1 0 20                          ; layer_norm.py:0:20
	s_wait_alu depctr_sa_sdst(0)
	s_or_b32 exec_lo, exec_lo, s2
	.loc	1 15 21 is_stmt 1               ; layer_norm.py:15:21
	v_add_nc_u32_e32 v22, 0x300, v1
	.loc	1 16 20                         ; layer_norm.py:16:20
	s_mov_b32 s2, exec_lo
	s_delay_alu instid0(VALU_DEP_1)
	.loc	1 16 42 is_stmt 0               ; layer_norm.py:16:42
	v_cmpx_gt_i32_e64 s9, v22
	.loc	1 16 20                         ; layer_norm.py:16:20
	s_cbranch_execz .LBB0_17
; %bb.16:                               ;   in Loop: Header=BB0_3 Depth=1
	global_load_u16 v20, v[2:3], off offset:1536
.LBB0_17:                               ;   in Loop: Header=BB0_3 Depth=1
	.loc	1 0 20                          ; layer_norm.py:0:20
	s_wait_alu depctr_sa_sdst(0)
	s_or_b32 exec_lo, exec_lo, s2
	.loc	1 16 42                         ; layer_norm.py:16:42
	v_add_nc_u32_e32 v1, 0x380, v1
	s_delay_alu instid0(VALU_DEP_1)
	v_cmp_gt_i32_e32 vcc_lo, s9, v1
	v_mov_b32_e32 v1, 0
	.loc	1 16 20                         ; layer_norm.py:16:20
	s_and_saveexec_b32 s2, vcc_lo
	s_cbranch_execz .LBB0_2
; %bb.18:                               ;   in Loop: Header=BB0_3 Depth=1
	global_load_u16 v1, v[2:3], off offset:1792
	s_branch .LBB0_2
.LBB0_19:                               ; %._crit_edge.loopexit
.Ltmp1:
	.file	2 "/root/.local/lib/python3.13/site-packages/triton/language" "standard.py"
	.loc	2 263 15 is_stmt 1              ; standard.py:263:15 @[ standard.py:293:36 @[ layer_norm.py:18:18 ] ]
	v_add_f32_e32 v1, v5, v6
	s_delay_alu instid0(VALU_DEP_1) | instskip(NEXT) | instid1(VALU_DEP_1)
	v_add_f32_e32 v1, v7, v1
	v_add_f32_e32 v1, v10, v1
	s_delay_alu instid0(VALU_DEP_1) | instskip(NEXT) | instid1(VALU_DEP_1)
	v_add_f32_e32 v1, v11, v1
	v_add_f32_e32 v1, v12, v1
	s_delay_alu instid0(VALU_DEP_1) | instskip(NEXT) | instid1(VALU_DEP_1)
	v_add_f32_e32 v1, v13, v1
	v_add_f32_e32 v1, v14, v1
	s_branch .LBB0_21
.LBB0_20:
	.loc	2 0 15 is_stmt 0                ; standard.py:0:15
	v_mov_b32_e32 v1, 0
.LBB0_21:                               ; %Flow59
	s_delay_alu instid0(VALU_DEP_1)
	.loc	2 263 15 is_stmt 1              ; standard.py:263:15 @[ standard.py:293:36 @[ layer_norm.py:18:18 ] ]
	v_add_f32_dpp v1, v1, v1 row_shr:8 row_mask:0xf bank_mask:0xf bound_ctrl:1
	s_clause 0x2
	s_load_b64 s[22:23], s[0:1], 0x8
	s_load_b128 s[16:19], s[0:1], 0x20
	s_load_b32 s25, s[0:1], 0x38
.Ltmp2:
	.loc	2 293 36                        ; standard.py:293:36 @[ layer_norm.py:18:18 ]
	v_cmp_eq_u32_e64 s1, 0, v4
	s_and_b32 s2, s24, 3
	s_wait_alu depctr_sa_sdst(0)
	s_lshl2_add_u32 s27, s2, 0
.Ltmp3:
	.loc	2 263 15                        ; standard.py:263:15 @[ standard.py:293:36 @[ layer_norm.py:18:18 ] ]
	v_add_f32_dpp v1, v1, v1 row_shr:4 row_mask:0xf bank_mask:0xf bound_ctrl:1
	s_delay_alu instid0(VALU_DEP_1) | instskip(NEXT) | instid1(VALU_DEP_1)
	v_add_f32_dpp v1, v1, v1 row_shr:2 row_mask:0xf bank_mask:0xf bound_ctrl:1
	v_add_f32_dpp v1, v1, v1 row_shr:1 row_mask:0xf bank_mask:0xf bound_ctrl:1
	s_delay_alu instid0(VALU_DEP_1) | instskip(NEXT) | instid1(VALU_DEP_1)
.Ltmp4:
	.loc	2 293 36                        ; standard.py:293:36 @[ layer_norm.py:18:18 ]
	v_permlanex16_b32 v2, v1, -1, -1 op_sel:[1,0]
.Ltmp5:
	.loc	2 263 15                        ; standard.py:263:15 @[ standard.py:293:36 @[ layer_norm.py:18:18 ] ]
	v_add_f32_e32 v1, v1, v2
	s_delay_alu instid0(VALU_DEP_1)
.Ltmp6:
	.loc	2 293 36                        ; standard.py:293:36 @[ layer_norm.py:18:18 ]
	v_readlane_b32 s0, v1, 31
	s_and_saveexec_b32 s2, s1
; %bb.22:
	v_dual_mov_b32 v1, s27 :: v_dual_mov_b32 v2, s0
	ds_store_b32 v1, v2
; %bb.23:
	.loc	2 0 36 is_stmt 0                ; standard.py:0:36
	s_wait_alu depctr_sa_sdst(0)
	s_or_b32 exec_lo, exec_lo, s2
	.loc	2 293 36                        ; standard.py:293:36 @[ layer_norm.py:18:18 ]
	s_wait_dscnt 0x0
	s_barrier_signal -1
	v_cmp_gt_u32_e64 s0, 4, v0
	v_lshl_add_u32 v5, v0, 2, 0
	v_mov_b32_e32 v1, 0
	s_barrier_wait -1
	global_inv scope:SCOPE_SE
	s_and_saveexec_b32 s2, s0
; %bb.24:
	ds_load_b32 v1, v5
; %bb.25:
	.loc	2 0 36                          ; standard.py:0:36
	s_wait_alu depctr_sa_sdst(0)
	s_or_b32 exec_lo, exec_lo, s2
	.loc	2 293 36                        ; standard.py:293:36 @[ layer_norm.py:18:18 ]
	s_wait_dscnt 0x0
	v_mov_b32_e32 v2, v1
	s_delay_alu instid0(VALU_DEP_1) | instskip(NEXT) | instid1(VALU_DEP_1)
	v_mov_b32_dpp v2, v2 quad_perm:[2,3,0,1] row_mask:0xf bank_mask:0xf
.Ltmp7:
	.loc	2 263 15 is_stmt 1              ; standard.py:263:15 @[ standard.py:293:36 @[ layer_norm.py:18:18 ] ]
	v_dual_add_f32 v1, v1, v2 :: v_dual_and_b32 v2, 3, v0
	s_delay_alu instid0(VALU_DEP_1) | instskip(NEXT) | instid1(VALU_DEP_2)
.Ltmp8:
	.loc	2 293 36                        ; standard.py:293:36 @[ layer_norm.py:18:18 ]
	v_mov_b32_e32 v0, v1
	v_cmp_eq_u32_e32 vcc_lo, 0, v2
	s_delay_alu instid0(VALU_DEP_2) | instskip(SKIP_1) | instid1(SALU_CYCLE_1)
	v_mov_b32_dpp v0, v0 quad_perm:[1,0,3,2] row_mask:0xf bank_mask:0xf
	s_and_b32 s28, s0, vcc_lo
	s_and_saveexec_b32 s2, s28
; %bb.26:
	.loc	2 0 36 is_stmt 0                ; standard.py:0:36
	s_delay_alu instid0(VALU_DEP_1)
	v_add_f32_e32 v0, v1, v0
	.loc	2 293 36                        ; standard.py:293:36 @[ layer_norm.py:18:18 ]
	ds_store_b32 v5, v0
; %bb.27:
	.loc	2 0 36                          ; standard.py:0:36
	s_wait_alu depctr_sa_sdst(0)
	s_or_b32 exec_lo, exec_lo, s2
	.loc	2 293 36                        ; standard.py:293:36 @[ layer_norm.py:18:18 ]
	s_wait_loadcnt_dscnt 0x0
	s_barrier_signal -1
	v_mov_b32_e32 v0, 0
.Ltmp9:
	.loc	1 18 35 is_stmt 1               ; layer_norm.py:18:35
	s_cvt_f32_i32 s26, s9
.Ltmp10:
	.loc	2 293 36                        ; standard.py:293:36 @[ layer_norm.py:18:18 ]
	s_mov_b32 s29, 0
	s_barrier_wait -1
	global_inv scope:SCOPE_SE
	ds_load_b32 v1, v0
.Ltmp11:
	.loc	1 18 35                         ; layer_norm.py:18:35
	s_wait_dscnt 0x0
	s_wait_alu depctr_sa_sdst(0)
	v_div_scale_f32 v2, null, s26, s26, v1
	v_div_scale_f32 v7, vcc_lo, v1, s26, v1
	s_delay_alu instid0(VALU_DEP_2)
	v_rcp_f32_e32 v6, v2
	v_xor_b32_e32 v2, 0x80000000, v2
	s_delay_alu instid0(TRANS32_DEP_1) | instid1(VALU_DEP_1)
	v_fma_f32 v3, v2, v6, 1.0
	s_delay_alu instid0(VALU_DEP_1) | instskip(NEXT) | instid1(VALU_DEP_1)
	v_fmac_f32_e32 v6, v3, v6
	v_mul_f32_e32 v10, v7, v6
	s_delay_alu instid0(VALU_DEP_1) | instskip(NEXT) | instid1(VALU_DEP_1)
	v_fma_f32 v3, v2, v10, v7
	v_fmac_f32_e32 v10, v3, v6
	.loc	1 20 27                         ; layer_norm.py:20:27
	v_cndmask_b32_e64 v3, 0, 1, s3
	s_delay_alu instid0(VALU_DEP_2) | instskip(SKIP_1) | instid1(VALU_DEP_1)
	.loc	1 18 35                         ; layer_norm.py:18:35
	v_fmac_f32_e32 v7, v2, v10
	s_wait_alu depctr_va_vcc(0)
	v_div_fmas_f32 v2, v7, v6, v10
	.loc	1 20 27                         ; layer_norm.py:20:27
	s_and_not1_b32 vcc_lo, exec_lo, s3
	s_delay_alu instid0(VALU_DEP_1)
	.loc	1 18 35                         ; layer_norm.py:18:35
	v_div_fixup_f32 v10, v2, s26, v1
	s_wait_alu depctr_sa_sdst(0)
	s_cbranch_vccnz .LBB0_47
; %bb.28:                               ; %.lr.ph6.preheader
	.loc	1 0 35 is_stmt 0                ; layer_norm.py:0:35
	v_dual_mov_b32 v6, 0 :: v_dual_mov_b32 v7, 0
	v_dual_mov_b32 v11, 0 :: v_dual_mov_b32 v12, 0
	;; [unrolled: 1-line block ×4, first 2 shown]
	s_branch .LBB0_30
.LBB0_29:                               ;   in Loop: Header=BB0_30 Depth=1
	s_or_b32 exec_lo, exec_lo, s30
	.loc	1 22 59 is_stmt 1               ; layer_norm.py:22:59
	s_wait_loadcnt 0x0
	v_cvt_f32_f16_e32 v1, v17
	v_cvt_f32_f16_e32 v17, v18
	;; [unrolled: 1-line block ×8, first 2 shown]
	.loc	1 23 35                         ; layer_norm.py:23:35
	v_sub_f32_e32 v21, v21, v10
	.loc	1 20 27                         ; layer_norm.py:20:27
	s_addk_co_i32 s29, 0x400
	s_delay_alu instid0(VALU_DEP_3)
	.loc	1 23 35                         ; layer_norm.py:23:35
	v_sub_f32_e32 v20, v20, v10
	.loc	1 20 27                         ; layer_norm.py:20:27
	s_wait_alu depctr_sa_sdst(0)
	s_cmp_lt_i32 s29, s9
	.loc	1 23 41                         ; layer_norm.py:23:41
	v_cndmask_b32_e64 v21, 0, v21, s7
	.loc	1 23 35 is_stmt 0               ; layer_norm.py:23:35
	v_sub_f32_e32 v0, v0, v10
	.loc	1 23 41                         ; layer_norm.py:23:41
	v_cndmask_b32_e64 v20, 0, v20, s6
	.loc	1 23 35                         ; layer_norm.py:23:35
	v_sub_f32_e32 v1, v1, v10
	s_delay_alu instid0(VALU_DEP_4) | instskip(NEXT) | instid1(VALU_DEP_4)
	.loc	1 24 16 is_stmt 1               ; layer_norm.py:24:16
	v_fmac_f32_e32 v15, v21, v21
	.loc	1 23 41                         ; layer_norm.py:23:41
	v_cndmask_b32_e64 v0, 0, v0, s8
	s_delay_alu instid0(VALU_DEP_4) | instskip(NEXT) | instid1(VALU_DEP_4)
	.loc	1 23 35 is_stmt 0               ; layer_norm.py:23:35
	v_dual_sub_f32 v17, v17, v10 :: v_dual_fmac_f32 v14, v20, v20
	v_dual_sub_f32 v2, v2, v10 :: v_dual_cndmask_b32 v1, 0, v1
	s_delay_alu instid0(VALU_DEP_3) | instskip(NEXT) | instid1(VALU_DEP_3)
	v_dual_sub_f32 v19, v19, v10 :: v_dual_fmac_f32 v16, v0, v0
	.loc	1 23 41                         ; layer_norm.py:23:41
	v_cndmask_b32_e64 v17, 0, v17, s3
	.loc	1 23 35                         ; layer_norm.py:23:35
	v_sub_f32_e32 v18, v18, v10
	s_delay_alu instid0(VALU_DEP_4)
	.loc	1 23 41                         ; layer_norm.py:23:41
	v_cndmask_b32_e64 v2, 0, v2, s2
	.loc	1 24 16 is_stmt 1               ; layer_norm.py:24:16
	v_fmac_f32_e32 v6, v1, v1
	.loc	1 23 41                         ; layer_norm.py:23:41
	v_cndmask_b32_e64 v19, 0, v19, s5
	.loc	1 24 16                         ; layer_norm.py:24:16
	v_fmac_f32_e32 v11, v17, v17
	.loc	1 23 41                         ; layer_norm.py:23:41
	v_cndmask_b32_e64 v18, 0, v18, s4
	.loc	1 24 16                         ; layer_norm.py:24:16
	v_fmac_f32_e32 v7, v2, v2
	s_delay_alu instid0(VALU_DEP_2)
	v_dual_fmac_f32 v13, v19, v19 :: v_dual_fmac_f32 v12, v18, v18
	s_cbranch_scc0 .LBB0_46
.LBB0_30:                               ; %.lr.ph6
                                        ; =>This Inner Loop Header: Depth=1
	.loc	1 0 16 is_stmt 0                ; layer_norm.py:0:16
	v_dual_mov_b32 v17, 0 :: v_dual_add_nc_u32 v0, s29, v9
	s_delay_alu instid0(VALU_DEP_1)
	.loc	1 22 42 is_stmt 1               ; layer_norm.py:22:42
	v_cmp_gt_i32_e32 vcc_lo, s9, v0
	.loc	1 22 20 is_stmt 0               ; layer_norm.py:22:20
	s_and_saveexec_b32 s3, vcc_lo
	s_cbranch_execz .LBB0_32
; %bb.31:                               ;   in Loop: Header=BB0_30 Depth=1
	.loc	1 0 20                          ; layer_norm.py:0:20
	v_ashrrev_i32_e32 v1, 31, v0
	s_delay_alu instid0(VALU_DEP_1) | instskip(NEXT) | instid1(VALU_DEP_1)
	v_lshlrev_b64_e32 v[1:2], 1, v[0:1]
	v_add_co_u32 v1, s2, s10, v1
	s_wait_alu depctr_va_sdst(0)
	s_delay_alu instid0(VALU_DEP_2)
	v_add_co_ci_u32_e64 v2, null, s11, v2, s2
	.loc	1 22 20                         ; layer_norm.py:22:20
	global_load_u16 v17, v[1:2], off
.LBB0_32:                               ;   in Loop: Header=BB0_30 Depth=1
	.loc	1 0 20                          ; layer_norm.py:0:20
	s_wait_alu depctr_sa_sdst(0)
	s_or_b32 exec_lo, exec_lo, s3
	.loc	1 22 24                         ; layer_norm.py:22:24
	s_ashr_i32 s2, s29, 31
	v_add_co_u32 v1, s3, s29, v8
	s_wait_alu depctr_sa_sdst(0) depctr_va_sdst(0)
	v_add_co_ci_u32_e64 v2, null, s2, 0, s3
	v_dual_mov_b32 v18, 0 :: v_dual_add_nc_u32 v19, 0x80, v0
	s_delay_alu instid0(VALU_DEP_2) | instskip(NEXT) | instid1(VALU_DEP_2)
	v_lshlrev_b64_e32 v[1:2], 1, v[1:2]
	.loc	1 22 42                         ; layer_norm.py:22:42
	v_cmp_gt_i32_e64 s2, s9, v19
	v_mov_b32_e32 v19, 0
	s_delay_alu instid0(VALU_DEP_3) | instskip(SKIP_1) | instid1(VALU_DEP_4)
	.loc	1 22 24                         ; layer_norm.py:22:24
	v_add_co_u32 v1, s3, s10, v1
	s_wait_alu depctr_va_sdst(0)
	v_add_co_ci_u32_e64 v2, null, s11, v2, s3
	.loc	1 22 20                         ; layer_norm.py:22:20
	s_and_saveexec_b32 s3, s2
	s_cbranch_execz .LBB0_34
; %bb.33:                               ;   in Loop: Header=BB0_30 Depth=1
	global_load_u16 v19, v[1:2], off offset:256
.LBB0_34:                               ;   in Loop: Header=BB0_30 Depth=1
	.loc	1 0 20                          ; layer_norm.py:0:20
	s_wait_alu depctr_sa_sdst(0)
	s_or_b32 exec_lo, exec_lo, s3
	.loc	1 21 21 is_stmt 1               ; layer_norm.py:21:21
	v_add_nc_u32_e32 v20, 0x100, v0
	s_delay_alu instid0(VALU_DEP_1)
	.loc	1 22 42                         ; layer_norm.py:22:42
	v_cmp_gt_i32_e64 s3, s9, v20
	.loc	1 22 20 is_stmt 0               ; layer_norm.py:22:20
	s_and_saveexec_b32 s4, s3
	s_cbranch_execz .LBB0_36
; %bb.35:                               ;   in Loop: Header=BB0_30 Depth=1
	global_load_u16 v18, v[1:2], off offset:512
.LBB0_36:                               ;   in Loop: Header=BB0_30 Depth=1
	.loc	1 0 20                          ; layer_norm.py:0:20
	s_wait_alu depctr_sa_sdst(0)
	s_or_b32 exec_lo, exec_lo, s4
	v_dual_mov_b32 v20, 0 :: v_dual_add_nc_u32 v21, 0x180, v0
	s_delay_alu instid0(VALU_DEP_1)
	.loc	1 22 42                         ; layer_norm.py:22:42
	v_cmp_gt_i32_e64 s4, s9, v21
	v_mov_b32_e32 v21, 0
	.loc	1 22 20                         ; layer_norm.py:22:20
	s_and_saveexec_b32 s5, s4
	s_cbranch_execz .LBB0_38
; %bb.37:                               ;   in Loop: Header=BB0_30 Depth=1
	global_load_u16 v21, v[1:2], off offset:768
.LBB0_38:                               ;   in Loop: Header=BB0_30 Depth=1
	.loc	1 0 20                          ; layer_norm.py:0:20
	s_wait_alu depctr_sa_sdst(0)
	s_or_b32 exec_lo, exec_lo, s5
	.loc	1 21 21 is_stmt 1               ; layer_norm.py:21:21
	v_add_nc_u32_e32 v22, 0x200, v0
	s_delay_alu instid0(VALU_DEP_1)
	.loc	1 22 42                         ; layer_norm.py:22:42
	v_cmp_gt_i32_e64 s5, s9, v22
	.loc	1 22 20 is_stmt 0               ; layer_norm.py:22:20
	s_and_saveexec_b32 s6, s5
	s_cbranch_execz .LBB0_40
; %bb.39:                               ;   in Loop: Header=BB0_30 Depth=1
	global_load_u16 v20, v[1:2], off offset:1024
.LBB0_40:                               ;   in Loop: Header=BB0_30 Depth=1
	.loc	1 0 20                          ; layer_norm.py:0:20
	s_wait_alu depctr_sa_sdst(0)
	s_or_b32 exec_lo, exec_lo, s6
	v_dual_mov_b32 v22, 0 :: v_dual_add_nc_u32 v23, 0x280, v0
	s_delay_alu instid0(VALU_DEP_1)
	.loc	1 22 42                         ; layer_norm.py:22:42
	v_cmp_gt_i32_e64 s6, s9, v23
	v_mov_b32_e32 v23, 0
	.loc	1 22 20                         ; layer_norm.py:22:20
	s_and_saveexec_b32 s7, s6
	s_cbranch_execz .LBB0_42
; %bb.41:                               ;   in Loop: Header=BB0_30 Depth=1
	global_load_u16 v23, v[1:2], off offset:1280
.LBB0_42:                               ;   in Loop: Header=BB0_30 Depth=1
	.loc	1 0 20                          ; layer_norm.py:0:20
	s_wait_alu depctr_sa_sdst(0)
	s_or_b32 exec_lo, exec_lo, s7
	.loc	1 21 21 is_stmt 1               ; layer_norm.py:21:21
	v_add_nc_u32_e32 v24, 0x300, v0
	s_delay_alu instid0(VALU_DEP_1)
	.loc	1 22 42                         ; layer_norm.py:22:42
	v_cmp_gt_i32_e64 s7, s9, v24
	.loc	1 22 20 is_stmt 0               ; layer_norm.py:22:20
	s_and_saveexec_b32 s8, s7
	s_cbranch_execz .LBB0_44
; %bb.43:                               ;   in Loop: Header=BB0_30 Depth=1
	global_load_u16 v22, v[1:2], off offset:1536
.LBB0_44:                               ;   in Loop: Header=BB0_30 Depth=1
	.loc	1 0 20                          ; layer_norm.py:0:20
	s_wait_alu depctr_sa_sdst(0)
	s_or_b32 exec_lo, exec_lo, s8
	.loc	1 22 42                         ; layer_norm.py:22:42
	v_add_nc_u32_e32 v0, 0x380, v0
	s_delay_alu instid0(VALU_DEP_1)
	v_cmp_gt_i32_e64 s8, s9, v0
	v_mov_b32_e32 v0, 0
	.loc	1 22 20                         ; layer_norm.py:22:20
	s_and_saveexec_b32 s30, s8
	s_cbranch_execz .LBB0_29
; %bb.45:                               ;   in Loop: Header=BB0_30 Depth=1
	global_load_u16 v0, v[1:2], off offset:1792
	s_branch .LBB0_29
.LBB0_46:                               ; %._crit_edge7.loopexit
	.loc	1 0 20                          ; layer_norm.py:0:20
	s_delay_alu instid0(VALU_DEP_2) | instskip(NEXT) | instid1(VALU_DEP_1)
.Ltmp12:
	.loc	2 293 36 is_stmt 1              ; standard.py:293:36 @[ layer_norm.py:25:17 ]
	v_add_f32_e32 v0, v6, v7
	v_add_f32_e32 v0, v11, v0
	s_delay_alu instid0(VALU_DEP_1) | instskip(NEXT) | instid1(VALU_DEP_1)
	v_add_f32_e32 v0, v12, v0
	v_add_f32_e32 v0, v13, v0
	s_delay_alu instid0(VALU_DEP_1) | instskip(NEXT) | instid1(VALU_DEP_1)
	v_add_f32_e32 v0, v14, v0
	v_add_f32_e32 v0, v15, v0
	s_delay_alu instid0(VALU_DEP_1)
	v_add_f32_e32 v0, v16, v0
.LBB0_47:                               ; %._crit_edge7
	.loc	2 0 36 is_stmt 0                ; standard.py:0:36
	s_delay_alu instid0(VALU_DEP_1) | instskip(SKIP_2) | instid1(VALU_DEP_1)
.Ltmp13:
	.loc	2 263 15 is_stmt 1              ; standard.py:263:15 @[ standard.py:293:36 @[ layer_norm.py:25:17 ] ]
	v_add_f32_dpp v0, v0, v0 row_shr:8 row_mask:0xf bank_mask:0xf bound_ctrl:1
.Ltmp14:
	.loc	2 293 36                        ; standard.py:293:36 @[ layer_norm.py:25:17 ]
	s_wait_loadcnt 0x0
	s_barrier_signal -1
.Ltmp15:
	.loc	2 263 15                        ; standard.py:263:15 @[ standard.py:293:36 @[ layer_norm.py:25:17 ] ]
	v_add_f32_dpp v0, v0, v0 row_shr:4 row_mask:0xf bank_mask:0xf bound_ctrl:1
	s_delay_alu instid0(VALU_DEP_1) | instskip(NEXT) | instid1(VALU_DEP_1)
	v_add_f32_dpp v0, v0, v0 row_shr:2 row_mask:0xf bank_mask:0xf bound_ctrl:1
	v_add_f32_dpp v0, v0, v0 row_shr:1 row_mask:0xf bank_mask:0xf bound_ctrl:1
.Ltmp16:
	.loc	2 293 36                        ; standard.py:293:36 @[ layer_norm.py:25:17 ]
	s_barrier_wait -1
	global_inv scope:SCOPE_SE
	v_permlanex16_b32 v1, v0, -1, -1 op_sel:[1,0]
	s_delay_alu instid0(VALU_DEP_1) | instskip(NEXT) | instid1(VALU_DEP_1)
.Ltmp17:
	.loc	2 263 15                        ; standard.py:263:15 @[ standard.py:293:36 @[ layer_norm.py:25:17 ] ]
	v_add_f32_e32 v0, v0, v1
.Ltmp18:
	.loc	2 293 36                        ; standard.py:293:36 @[ layer_norm.py:25:17 ]
	v_readlane_b32 s3, v0, 31
	s_and_saveexec_b32 s2, s1
; %bb.48:
	v_dual_mov_b32 v0, s27 :: v_dual_mov_b32 v1, s3
	ds_store_b32 v0, v1
; %bb.49:
	.loc	2 0 36 is_stmt 0                ; standard.py:0:36
	s_wait_alu depctr_sa_sdst(0)
	s_or_b32 exec_lo, exec_lo, s2
	.loc	2 293 36                        ; standard.py:293:36 @[ layer_norm.py:25:17 ]
	s_wait_loadcnt_dscnt 0x0
	s_barrier_signal -1
	v_mov_b32_e32 v0, 0
	s_barrier_wait -1
	global_inv scope:SCOPE_SE
	s_and_saveexec_b32 s1, s0
; %bb.50:
	ds_load_b32 v0, v5
; %bb.51:
	.loc	2 0 36                          ; standard.py:0:36
	s_wait_alu depctr_sa_sdst(0)
	s_or_b32 exec_lo, exec_lo, s1
	.loc	2 293 36                        ; standard.py:293:36 @[ layer_norm.py:25:17 ]
	s_wait_dscnt 0x0
	v_mov_b32_e32 v1, v0
	s_delay_alu instid0(VALU_DEP_1) | instskip(NEXT) | instid1(VALU_DEP_1)
	v_mov_b32_dpp v1, v1 quad_perm:[2,3,0,1] row_mask:0xf bank_mask:0xf
.Ltmp19:
	.loc	2 263 15 is_stmt 1              ; standard.py:263:15 @[ standard.py:293:36 @[ layer_norm.py:25:17 ] ]
	v_add_f32_e32 v0, v0, v1
	s_delay_alu instid0(VALU_DEP_1) | instskip(NEXT) | instid1(VALU_DEP_1)
.Ltmp20:
	.loc	2 293 36                        ; standard.py:293:36 @[ layer_norm.py:25:17 ]
	v_mov_b32_e32 v1, v0
	v_mov_b32_dpp v1, v1 quad_perm:[1,0,3,2] row_mask:0xf bank_mask:0xf
	s_and_saveexec_b32 s0, s28
; %bb.52:
	.loc	2 0 36 is_stmt 0                ; standard.py:0:36
	s_delay_alu instid0(VALU_DEP_1)
	v_add_f32_e32 v0, v0, v1
	.loc	2 293 36                        ; standard.py:293:36 @[ layer_norm.py:25:17 ]
	ds_store_b32 v5, v0
; %bb.53:
	.loc	2 0 36                          ; standard.py:0:36
	s_wait_alu depctr_sa_sdst(0)
	s_or_b32 exec_lo, exec_lo, s0
	.loc	2 293 36                        ; standard.py:293:36 @[ layer_norm.py:25:17 ]
	s_wait_loadcnt_dscnt 0x0
	s_barrier_signal -1
	v_mov_b32_e32 v0, 0
.Ltmp21:
	.loc	1 27 25 is_stmt 1               ; layer_norm.py:27:25
	v_or_b32_e32 v4, s24, v4
	s_mov_b32 s0, exec_lo
.Ltmp22:
	.loc	2 293 36                        ; standard.py:293:36 @[ layer_norm.py:25:17 ]
	s_barrier_wait -1
	global_inv scope:SCOPE_SE
	ds_load_b32 v1, v0
.Ltmp23:
	.loc	1 25 33                         ; layer_norm.py:25:33
	s_wait_dscnt 0x0
	v_div_scale_f32 v2, null, s26, s26, v1
	v_div_scale_f32 v7, vcc_lo, v1, s26, v1
	s_delay_alu instid0(VALU_DEP_2)
	v_rcp_f32_e32 v5, v2
	v_xor_b32_e32 v2, 0x80000000, v2
	s_delay_alu instid0(TRANS32_DEP_1) | instid1(VALU_DEP_1)
	v_fma_f32 v6, v2, v5, 1.0
	s_delay_alu instid0(VALU_DEP_1) | instskip(NEXT) | instid1(VALU_DEP_1)
	v_fmac_f32_e32 v5, v6, v5
	v_mul_f32_e32 v6, v7, v5
	s_delay_alu instid0(VALU_DEP_1) | instskip(NEXT) | instid1(VALU_DEP_1)
	v_fma_f32 v11, v2, v6, v7
	v_fmac_f32_e32 v6, v11, v5
	s_delay_alu instid0(VALU_DEP_1) | instskip(SKIP_1) | instid1(VALU_DEP_1)
	v_fmac_f32_e32 v7, v2, v6
	s_wait_alu depctr_va_vcc(0)
	v_div_fmas_f32 v2, v7, v5, v6
	s_delay_alu instid0(VALU_DEP_1) | instskip(SKIP_1) | instid1(VALU_DEP_1)
	v_div_fixup_f32 v1, v2, s26, v1
	.loc	1 26 29                         ; layer_norm.py:26:29
	s_wait_kmcnt 0x0
	v_add_f32_e32 v1, s25, v1
	s_delay_alu instid0(VALU_DEP_1) | instskip(NEXT) | instid1(TRANS32_DEP_1)
	.loc	1 26 23 is_stmt 0               ; layer_norm.py:26:23
	v_sqrt_f32_e32 v1, v1
	.loc	1 26 15                         ; layer_norm.py:26:15
	v_div_scale_f32 v2, null, v1, v1, 1.0
	v_div_scale_f32 v7, vcc_lo, 1.0, v1, 1.0
	s_delay_alu instid0(VALU_DEP_2)
	v_rcp_f32_e32 v5, v2
	v_xor_b32_e32 v2, 0x80000000, v2
	s_delay_alu instid0(TRANS32_DEP_1) | instid1(VALU_DEP_1)
	v_fma_f32 v6, v2, v5, 1.0
	s_delay_alu instid0(VALU_DEP_1) | instskip(NEXT) | instid1(VALU_DEP_1)
	v_fmac_f32_e32 v5, v6, v5
	v_mul_f32_e32 v6, v7, v5
	s_delay_alu instid0(VALU_DEP_1) | instskip(NEXT) | instid1(VALU_DEP_1)
	v_fma_f32 v11, v2, v6, v7
	v_fmac_f32_e32 v6, v11, v5
	s_delay_alu instid0(VALU_DEP_1) | instskip(SKIP_1) | instid1(VALU_DEP_1)
	v_fmac_f32_e32 v7, v2, v6
	s_wait_alu depctr_va_vcc(0)
	v_div_fmas_f32 v2, v7, v5, v6
	s_delay_alu instid0(VALU_DEP_1)
	v_div_fixup_f32 v11, v2, v1, 1.0
	.loc	1 27 25 is_stmt 1               ; layer_norm.py:27:25
	v_cmpx_eq_u32_e32 0, v4
	s_cbranch_execz .LBB0_55
; %bb.54:
	.loc	1 0 25 is_stmt 0                ; layer_norm.py:0:25
	s_wait_alu depctr_sa_sdst(0)
	s_mov_b32 s2, ttmp9
	s_ashr_i32 s3, ttmp9, 31
	s_wait_alu depctr_sa_sdst(0)
	s_lshl_b64 s[2:3], s[2:3], 2
	s_wait_alu depctr_sa_sdst(0)
	s_add_nc_u64 s[4:5], s[16:17], s[2:3]
	s_add_nc_u64 s[2:3], s[18:19], s[2:3]
	.loc	1 27 25                         ; layer_norm.py:27:25
	s_clause 0x1
	global_store_b32 v0, v10, s[4:5]
	global_store_b32 v0, v11, s[2:3]
.LBB0_55:                               ; %.critedge
	.loc	1 0 25                          ; layer_norm.py:0:25
	s_wait_alu depctr_sa_sdst(0)
	s_or_b32 exec_lo, exec_lo, s0
	.loc	1 29 27 is_stmt 1               ; layer_norm.py:29:27
	v_cmp_ne_u32_e32 vcc_lo, 1, v3
	s_cbranch_vccnz .LBB0_122
; %bb.56:                               ; %.lr.ph9.preheader
	.loc	1 10 9                          ; layer_norm.py:10:9
	s_add_nc_u64 s[16:17], s[22:23], s[20:21]
	s_mov_b32 s8, 0
	s_branch .LBB0_58
.LBB0_57:                               ;   in Loop: Header=BB0_58 Depth=1
	.loc	1 0 9 is_stmt 0                 ; layer_norm.py:0:9
	s_wait_alu depctr_sa_sdst(0)
	s_or_b32 exec_lo, exec_lo, s0
	.loc	1 29 27 is_stmt 1               ; layer_norm.py:29:27
	s_addk_co_i32 s8, 0x400
	s_wait_alu depctr_sa_sdst(0)
	s_cmp_lt_i32 s8, s9
	s_cbranch_scc0 .LBB0_122
.LBB0_58:                               ; %.lr.ph9
                                        ; =>This Inner Loop Header: Depth=1
	.loc	1 0 27 is_stmt 0                ; layer_norm.py:0:27
	s_wait_alu depctr_sa_sdst(0)
	v_dual_mov_b32 v13, 0 :: v_dual_add_nc_u32 v0, s8, v9
	s_delay_alu instid0(VALU_DEP_1)
	.loc	1 31 22 is_stmt 1               ; layer_norm.py:31:22
	v_cmp_gt_i32_e32 vcc_lo, s9, v0
	.loc	1 32 20                         ; layer_norm.py:32:20
	s_and_saveexec_b32 s1, vcc_lo
	s_cbranch_execz .LBB0_60
; %bb.59:                               ;   in Loop: Header=BB0_58 Depth=1
	.loc	1 0 20 is_stmt 0                ; layer_norm.py:0:20
	v_ashrrev_i32_e32 v1, 31, v0
	s_delay_alu instid0(VALU_DEP_1) | instskip(NEXT) | instid1(VALU_DEP_1)
	v_lshlrev_b64_e32 v[1:2], 2, v[0:1]
	v_add_co_u32 v1, s0, s12, v1
	s_wait_alu depctr_va_sdst(0)
	s_delay_alu instid0(VALU_DEP_2)
	v_add_co_ci_u32_e64 v2, null, s13, v2, s0
	.loc	1 32 20                         ; layer_norm.py:32:20
	global_load_b32 v13, v[1:2], off
.LBB0_60:                               ;   in Loop: Header=BB0_58 Depth=1
	.loc	1 0 20                          ; layer_norm.py:0:20
	s_wait_alu depctr_sa_sdst(0)
	s_or_b32 exec_lo, exec_lo, s1
	.loc	1 32 24                         ; layer_norm.py:32:24
	s_ashr_i32 s0, s8, 31
	v_add_co_u32 v2, s1, s8, v8
	s_wait_alu depctr_sa_sdst(0) depctr_va_sdst(0)
	v_add_co_ci_u32_e64 v3, null, s0, 0, s1
	v_dual_mov_b32 v12, 0 :: v_dual_add_nc_u32 v1, 0x80, v0
	v_mov_b32_e32 v16, 0
	s_delay_alu instid0(VALU_DEP_3) | instskip(NEXT) | instid1(VALU_DEP_3)
	v_lshlrev_b64_e32 v[4:5], 2, v[2:3]
	.loc	1 31 22 is_stmt 1               ; layer_norm.py:31:22
	v_cmp_gt_i32_e64 s0, s9, v1
	s_delay_alu instid0(VALU_DEP_2) | instskip(SKIP_1) | instid1(VALU_DEP_3)
	.loc	1 32 24                         ; layer_norm.py:32:24
	v_add_co_u32 v6, s1, s12, v4
	s_wait_alu depctr_va_sdst(0)
	v_add_co_ci_u32_e64 v7, null, s13, v5, s1
	.loc	1 32 20 is_stmt 0               ; layer_norm.py:32:20
	s_and_saveexec_b32 s1, s0
	s_cbranch_execz .LBB0_62
; %bb.61:                               ;   in Loop: Header=BB0_58 Depth=1
	global_load_b32 v16, v[6:7], off offset:512
.LBB0_62:                               ;   in Loop: Header=BB0_58 Depth=1
	.loc	1 0 20                          ; layer_norm.py:0:20
	s_wait_alu depctr_sa_sdst(0)
	s_or_b32 exec_lo, exec_lo, s1
	.loc	1 30 21 is_stmt 1               ; layer_norm.py:30:21
	v_add_nc_u32_e32 v1, 0x100, v0
	s_delay_alu instid0(VALU_DEP_1)
	.loc	1 31 22                         ; layer_norm.py:31:22
	v_cmp_gt_i32_e64 s1, s9, v1
	.loc	1 32 20                         ; layer_norm.py:32:20
	s_and_saveexec_b32 s2, s1
	s_cbranch_execz .LBB0_64
; %bb.63:                               ;   in Loop: Header=BB0_58 Depth=1
	global_load_b32 v12, v[6:7], off offset:1024
.LBB0_64:                               ;   in Loop: Header=BB0_58 Depth=1
	.loc	1 0 20 is_stmt 0                ; layer_norm.py:0:20
	s_wait_alu depctr_sa_sdst(0)
	s_or_b32 exec_lo, exec_lo, s2
	v_dual_mov_b32 v14, 0 :: v_dual_add_nc_u32 v1, 0x180, v0
	v_mov_b32_e32 v17, 0
	s_delay_alu instid0(VALU_DEP_2)
	.loc	1 31 22 is_stmt 1               ; layer_norm.py:31:22
	v_cmp_gt_i32_e64 s2, s9, v1
	.loc	1 32 20                         ; layer_norm.py:32:20
	s_and_saveexec_b32 s3, s2
	s_cbranch_execz .LBB0_66
; %bb.65:                               ;   in Loop: Header=BB0_58 Depth=1
	global_load_b32 v17, v[6:7], off offset:1536
.LBB0_66:                               ;   in Loop: Header=BB0_58 Depth=1
	.loc	1 0 20 is_stmt 0                ; layer_norm.py:0:20
	s_wait_alu depctr_sa_sdst(0)
	s_or_b32 exec_lo, exec_lo, s3
	.loc	1 30 21 is_stmt 1               ; layer_norm.py:30:21
	v_add_nc_u32_e32 v1, 0x200, v0
	s_delay_alu instid0(VALU_DEP_1)
	.loc	1 31 22                         ; layer_norm.py:31:22
	v_cmp_gt_i32_e64 s3, s9, v1
	.loc	1 32 20                         ; layer_norm.py:32:20
	s_and_saveexec_b32 s4, s3
	s_cbranch_execz .LBB0_68
; %bb.67:                               ;   in Loop: Header=BB0_58 Depth=1
	global_load_b32 v14, v[6:7], off offset:2048
.LBB0_68:                               ;   in Loop: Header=BB0_58 Depth=1
	.loc	1 0 20 is_stmt 0                ; layer_norm.py:0:20
	s_wait_alu depctr_sa_sdst(0)
	s_or_b32 exec_lo, exec_lo, s4
	v_dual_mov_b32 v18, 0 :: v_dual_add_nc_u32 v1, 0x280, v0
	v_mov_b32_e32 v15, 0
	s_delay_alu instid0(VALU_DEP_2)
	.loc	1 31 22 is_stmt 1               ; layer_norm.py:31:22
	v_cmp_gt_i32_e64 s4, s9, v1
	.loc	1 32 20                         ; layer_norm.py:32:20
	s_and_saveexec_b32 s5, s4
	s_cbranch_execz .LBB0_70
; %bb.69:                               ;   in Loop: Header=BB0_58 Depth=1
	global_load_b32 v18, v[6:7], off offset:2560
.LBB0_70:                               ;   in Loop: Header=BB0_58 Depth=1
	.loc	1 0 20 is_stmt 0                ; layer_norm.py:0:20
	;; [unrolled: 28-line block ×3, first 2 shown]
	s_wait_alu depctr_sa_sdst(0)
	s_or_b32 exec_lo, exec_lo, s7
	.loc	1 33 20 is_stmt 1               ; layer_norm.py:33:20
	s_and_saveexec_b32 s18, vcc_lo
	s_cbranch_execz .LBB0_76
; %bb.75:                               ;   in Loop: Header=BB0_58 Depth=1
	.loc	1 0 20 is_stmt 0                ; layer_norm.py:0:20
	v_ashrrev_i32_e32 v1, 31, v0
	s_delay_alu instid0(VALU_DEP_1) | instskip(NEXT) | instid1(VALU_DEP_1)
	v_lshlrev_b64_e32 v[6:7], 2, v[0:1]
	v_add_co_u32 v6, s7, s14, v6
	s_wait_alu depctr_va_sdst(0)
	s_delay_alu instid0(VALU_DEP_2)
	v_add_co_ci_u32_e64 v7, null, s15, v7, s7
	.loc	1 33 20                         ; layer_norm.py:33:20
	global_load_b32 v20, v[6:7], off
.LBB0_76:                               ;   in Loop: Header=BB0_58 Depth=1
	.loc	1 0 20                          ; layer_norm.py:0:20
	s_or_b32 exec_lo, exec_lo, s18
	.loc	1 33 24                         ; layer_norm.py:33:24
	v_add_co_u32 v4, s7, s14, v4
	s_wait_alu depctr_va_sdst(0)
	v_add_co_ci_u32_e64 v5, null, s15, v5, s7
	v_mov_b32_e32 v21, 0
	v_mov_b32_e32 v25, 0
	.loc	1 33 20                         ; layer_norm.py:33:20
	s_and_saveexec_b32 s7, s0
	s_cbranch_execz .LBB0_78
; %bb.77:                               ;   in Loop: Header=BB0_58 Depth=1
	global_load_b32 v25, v[4:5], off offset:512
.LBB0_78:                               ;   in Loop: Header=BB0_58 Depth=1
	.loc	1 0 20                          ; layer_norm.py:0:20
	s_wait_alu depctr_sa_sdst(0)
	s_or_b32 exec_lo, exec_lo, s7
	.loc	1 33 20                         ; layer_norm.py:33:20
	s_and_saveexec_b32 s7, s1
	s_cbranch_execz .LBB0_80
; %bb.79:                               ;   in Loop: Header=BB0_58 Depth=1
	global_load_b32 v21, v[4:5], off offset:1024
.LBB0_80:                               ;   in Loop: Header=BB0_58 Depth=1
	.loc	1 0 20                          ; layer_norm.py:0:20
	s_wait_alu depctr_sa_sdst(0)
	s_or_b32 exec_lo, exec_lo, s7
	v_dual_mov_b32 v7, 0 :: v_dual_mov_b32 v24, 0
	.loc	1 33 20                         ; layer_norm.py:33:20
	s_and_saveexec_b32 s7, s2
	s_cbranch_execz .LBB0_82
; %bb.81:                               ;   in Loop: Header=BB0_58 Depth=1
	global_load_b32 v24, v[4:5], off offset:1536
.LBB0_82:                               ;   in Loop: Header=BB0_58 Depth=1
	.loc	1 0 20                          ; layer_norm.py:0:20
	s_wait_alu depctr_sa_sdst(0)
	s_or_b32 exec_lo, exec_lo, s7
	.loc	1 33 20                         ; layer_norm.py:33:20
	s_and_saveexec_b32 s7, s3
	s_cbranch_execz .LBB0_84
; %bb.83:                               ;   in Loop: Header=BB0_58 Depth=1
	global_load_b32 v7, v[4:5], off offset:2048
.LBB0_84:                               ;   in Loop: Header=BB0_58 Depth=1
	.loc	1 0 20                          ; layer_norm.py:0:20
	s_wait_alu depctr_sa_sdst(0)
	s_or_b32 exec_lo, exec_lo, s7
	v_dual_mov_b32 v6, 0 :: v_dual_mov_b32 v23, 0
	;; [unrolled: 19-line block ×3, first 2 shown]
	.loc	1 33 20                         ; layer_norm.py:33:20
	s_and_saveexec_b32 s7, s6
	s_cbranch_execz .LBB0_90
; %bb.89:                               ;   in Loop: Header=BB0_58 Depth=1
	global_load_b32 v22, v[4:5], off offset:3584
.LBB0_90:                               ;   in Loop: Header=BB0_58 Depth=1
	.loc	1 0 20                          ; layer_norm.py:0:20
	s_wait_alu depctr_sa_sdst(0)
	s_or_b32 exec_lo, exec_lo, s7
	.loc	1 34 20 is_stmt 1               ; layer_norm.py:34:20
	s_and_saveexec_b32 s18, vcc_lo
	s_cbranch_execz .LBB0_92
; %bb.91:                               ;   in Loop: Header=BB0_58 Depth=1
	.loc	1 0 20 is_stmt 0                ; layer_norm.py:0:20
	v_ashrrev_i32_e32 v1, 31, v0
	s_delay_alu instid0(VALU_DEP_1) | instskip(NEXT) | instid1(VALU_DEP_1)
	v_lshlrev_b64_e32 v[4:5], 1, v[0:1]
	v_add_co_u32 v4, s7, s10, v4
	s_wait_alu depctr_va_sdst(0)
	s_delay_alu instid0(VALU_DEP_2)
	v_add_co_ci_u32_e64 v5, null, s11, v5, s7
	.loc	1 34 20                         ; layer_norm.py:34:20
	global_load_u16 v1, v[4:5], off
.LBB0_92:                               ;   in Loop: Header=BB0_58 Depth=1
	.loc	1 0 20                          ; layer_norm.py:0:20
	s_or_b32 exec_lo, exec_lo, s18
	.loc	1 34 24                         ; layer_norm.py:34:24
	v_lshlrev_b64_e32 v[2:3], 1, v[2:3]
	v_mov_b32_e32 v26, 0
	v_mov_b32_e32 v32, 0
	s_delay_alu instid0(VALU_DEP_3) | instskip(SKIP_1) | instid1(VALU_DEP_4)
	v_add_co_u32 v4, s7, s10, v2
	s_wait_alu depctr_va_sdst(0)
	v_add_co_ci_u32_e64 v5, null, s11, v3, s7
	.loc	1 34 20                         ; layer_norm.py:34:20
	s_and_saveexec_b32 s7, s0
	s_cbranch_execz .LBB0_94
; %bb.93:                               ;   in Loop: Header=BB0_58 Depth=1
	global_load_u16 v32, v[4:5], off offset:256
.LBB0_94:                               ;   in Loop: Header=BB0_58 Depth=1
	.loc	1 0 20                          ; layer_norm.py:0:20
	s_wait_alu depctr_sa_sdst(0)
	s_or_b32 exec_lo, exec_lo, s7
	.loc	1 34 20                         ; layer_norm.py:34:20
	s_and_saveexec_b32 s7, s1
	s_cbranch_execz .LBB0_96
; %bb.95:                               ;   in Loop: Header=BB0_58 Depth=1
	global_load_u16 v26, v[4:5], off offset:512
.LBB0_96:                               ;   in Loop: Header=BB0_58 Depth=1
	.loc	1 0 20                          ; layer_norm.py:0:20
	s_wait_alu depctr_sa_sdst(0)
	s_or_b32 exec_lo, exec_lo, s7
	v_dual_mov_b32 v28, 0 :: v_dual_mov_b32 v31, 0
	.loc	1 34 20                         ; layer_norm.py:34:20
	s_and_saveexec_b32 s7, s2
	s_cbranch_execz .LBB0_98
; %bb.97:                               ;   in Loop: Header=BB0_58 Depth=1
	global_load_u16 v31, v[4:5], off offset:768
.LBB0_98:                               ;   in Loop: Header=BB0_58 Depth=1
	.loc	1 0 20                          ; layer_norm.py:0:20
	s_wait_alu depctr_sa_sdst(0)
	s_or_b32 exec_lo, exec_lo, s7
	.loc	1 34 20                         ; layer_norm.py:34:20
	s_and_saveexec_b32 s7, s3
	s_cbranch_execz .LBB0_100
; %bb.99:                               ;   in Loop: Header=BB0_58 Depth=1
	global_load_u16 v28, v[4:5], off offset:1024
.LBB0_100:                              ;   in Loop: Header=BB0_58 Depth=1
	.loc	1 0 20                          ; layer_norm.py:0:20
	s_wait_alu depctr_sa_sdst(0)
	s_or_b32 exec_lo, exec_lo, s7
	v_dual_mov_b32 v27, 0 :: v_dual_mov_b32 v30, 0
	.loc	1 34 20                         ; layer_norm.py:34:20
	s_and_saveexec_b32 s7, s4
	s_cbranch_execnz .LBB0_112
; %bb.101:                              ;   in Loop: Header=BB0_58 Depth=1
	.loc	1 0 20                          ; layer_norm.py:0:20
	s_wait_alu depctr_sa_sdst(0)
	s_or_b32 exec_lo, exec_lo, s7
	.loc	1 34 20                         ; layer_norm.py:34:20
	s_and_saveexec_b32 s7, s5
	s_cbranch_execnz .LBB0_113
.LBB0_102:                              ;   in Loop: Header=BB0_58 Depth=1
	.loc	1 0 20                          ; layer_norm.py:0:20
	s_wait_alu depctr_sa_sdst(0)
	s_or_b32 exec_lo, exec_lo, s7
	v_mov_b32_e32 v29, 0
	.loc	1 34 20                         ; layer_norm.py:34:20
	s_and_saveexec_b32 s7, s6
	s_cbranch_execnz .LBB0_114
.LBB0_103:                              ;   in Loop: Header=BB0_58 Depth=1
	.loc	1 0 20                          ; layer_norm.py:0:20
	s_wait_alu depctr_sa_sdst(0)
	s_or_b32 exec_lo, exec_lo, s7
	.loc	1 37 27 is_stmt 1               ; layer_norm.py:37:27
	s_and_saveexec_b32 s7, vcc_lo
	s_cbranch_execz .LBB0_105
.LBB0_104:                              ;   in Loop: Header=BB0_58 Depth=1
	.loc	1 0 27 is_stmt 0                ; layer_norm.py:0:27
	s_wait_loadcnt 0x0
	v_cvt_f32_f16_e32 v4, v1
	v_ashrrev_i32_e32 v1, 31, v0
	s_delay_alu instid0(VALU_DEP_2) | instskip(NEXT) | instid1(VALU_DEP_2)
	v_sub_f32_e32 v4, v4, v10
	v_lshlrev_b64_e32 v[0:1], 1, v[0:1]
	s_delay_alu instid0(VALU_DEP_2) | instskip(NEXT) | instid1(VALU_DEP_2)
	v_mul_f32_e32 v4, v11, v4
	v_add_co_u32 v0, vcc_lo, s16, v0
	s_wait_alu depctr_va_vcc(0)
	s_delay_alu instid0(VALU_DEP_3) | instskip(NEXT) | instid1(VALU_DEP_3)
	v_add_co_ci_u32_e64 v1, null, s17, v1, vcc_lo
	v_fma_mixlo_f16 v4, v13, v4, v20
	.loc	1 37 27                         ; layer_norm.py:37:27
	global_store_b16 v[0:1], v4, off
.LBB0_105:                              ;   in Loop: Header=BB0_58 Depth=1
	.loc	1 0 27                          ; layer_norm.py:0:27
	s_wait_alu depctr_sa_sdst(0)
	s_or_b32 exec_lo, exec_lo, s7
	.loc	1 37 21                         ; layer_norm.py:37:21
	v_add_co_u32 v0, vcc_lo, s16, v2
	s_wait_loadcnt 0x0
	s_wait_alu depctr_va_vcc(0)
	v_add_co_ci_u32_e64 v1, null, s17, v3, vcc_lo
	.loc	1 37 27                         ; layer_norm.py:37:27
	s_and_saveexec_b32 s7, s0
	s_cbranch_execnz .LBB0_115
; %bb.106:                              ;   in Loop: Header=BB0_58 Depth=1
	.loc	1 0 27                          ; layer_norm.py:0:27
	s_wait_alu depctr_sa_sdst(0)
	s_or_b32 exec_lo, exec_lo, s7
	.loc	1 37 27                         ; layer_norm.py:37:27
	s_and_saveexec_b32 s0, s1
	s_cbranch_execnz .LBB0_116
.LBB0_107:                              ;   in Loop: Header=BB0_58 Depth=1
	.loc	1 0 27                          ; layer_norm.py:0:27
	s_wait_alu depctr_sa_sdst(0)
	s_or_b32 exec_lo, exec_lo, s0
	.loc	1 37 27                         ; layer_norm.py:37:27
	s_and_saveexec_b32 s0, s2
	s_cbranch_execnz .LBB0_117
.LBB0_108:                              ;   in Loop: Header=BB0_58 Depth=1
	.loc	1 0 27                          ; layer_norm.py:0:27
	s_wait_alu depctr_sa_sdst(0)
	s_or_b32 exec_lo, exec_lo, s0
	.loc	1 37 27                         ; layer_norm.py:37:27
	s_and_saveexec_b32 s0, s3
	s_cbranch_execnz .LBB0_118
.LBB0_109:                              ;   in Loop: Header=BB0_58 Depth=1
	.loc	1 0 27                          ; layer_norm.py:0:27
	s_wait_alu depctr_sa_sdst(0)
	s_or_b32 exec_lo, exec_lo, s0
	.loc	1 37 27                         ; layer_norm.py:37:27
	s_and_saveexec_b32 s0, s4
	s_cbranch_execnz .LBB0_119
.LBB0_110:                              ;   in Loop: Header=BB0_58 Depth=1
	.loc	1 0 27                          ; layer_norm.py:0:27
	s_wait_alu depctr_sa_sdst(0)
	s_or_b32 exec_lo, exec_lo, s0
	.loc	1 37 27                         ; layer_norm.py:37:27
	s_and_saveexec_b32 s0, s5
	s_cbranch_execnz .LBB0_120
.LBB0_111:                              ;   in Loop: Header=BB0_58 Depth=1
	.loc	1 0 27                          ; layer_norm.py:0:27
	s_wait_alu depctr_sa_sdst(0)
	s_or_b32 exec_lo, exec_lo, s0
	.loc	1 37 27                         ; layer_norm.py:37:27
	s_and_saveexec_b32 s0, s6
	s_cbranch_execz .LBB0_57
	s_branch .LBB0_121
.LBB0_112:                              ;   in Loop: Header=BB0_58 Depth=1
	.loc	1 34 20 is_stmt 1               ; layer_norm.py:34:20
	global_load_u16 v30, v[4:5], off offset:1280
	s_wait_alu depctr_sa_sdst(0)
	s_or_b32 exec_lo, exec_lo, s7
	s_and_saveexec_b32 s7, s5
	s_cbranch_execz .LBB0_102
.LBB0_113:                              ;   in Loop: Header=BB0_58 Depth=1
	global_load_u16 v27, v[4:5], off offset:1536
	s_wait_alu depctr_sa_sdst(0)
	s_or_b32 exec_lo, exec_lo, s7
	v_mov_b32_e32 v29, 0
	s_and_saveexec_b32 s7, s6
	s_cbranch_execz .LBB0_103
.LBB0_114:                              ;   in Loop: Header=BB0_58 Depth=1
	global_load_u16 v29, v[4:5], off offset:1792
	s_wait_alu depctr_sa_sdst(0)
	s_or_b32 exec_lo, exec_lo, s7
	.loc	1 37 27                         ; layer_norm.py:37:27
	s_and_saveexec_b32 s7, vcc_lo
	s_cbranch_execnz .LBB0_104
	s_branch .LBB0_105
.LBB0_115:                              ;   in Loop: Header=BB0_58 Depth=1
	.loc	1 34 55                         ; layer_norm.py:34:55
	v_cvt_f32_f16_e32 v2, v32
	s_delay_alu instid0(VALU_DEP_1) | instskip(NEXT) | instid1(VALU_DEP_1)
	.loc	1 35 21                         ; layer_norm.py:35:21
	v_sub_f32_e32 v2, v2, v10
	.loc	1 35 29 is_stmt 0               ; layer_norm.py:35:29
	v_mul_f32_e32 v2, v11, v2
	s_delay_alu instid0(VALU_DEP_1)
	.loc	1 37 27 is_stmt 1               ; layer_norm.py:37:27
	v_fma_mixlo_f16 v2, v16, v2, v25
	global_store_b16 v[0:1], v2, off offset:256
	s_wait_alu depctr_sa_sdst(0)
	s_or_b32 exec_lo, exec_lo, s7
	s_and_saveexec_b32 s0, s1
	s_cbranch_execz .LBB0_107
.LBB0_116:                              ;   in Loop: Header=BB0_58 Depth=1
	.loc	1 34 55                         ; layer_norm.py:34:55
	v_cvt_f32_f16_e32 v2, v26
	s_delay_alu instid0(VALU_DEP_1) | instskip(NEXT) | instid1(VALU_DEP_1)
	.loc	1 35 21                         ; layer_norm.py:35:21
	v_sub_f32_e32 v2, v2, v10
	.loc	1 35 29 is_stmt 0               ; layer_norm.py:35:29
	v_mul_f32_e32 v2, v11, v2
	s_delay_alu instid0(VALU_DEP_1)
	.loc	1 37 27 is_stmt 1               ; layer_norm.py:37:27
	v_fma_mixlo_f16 v2, v12, v2, v21
	global_store_b16 v[0:1], v2, off offset:512
	s_wait_alu depctr_sa_sdst(0)
	s_or_b32 exec_lo, exec_lo, s0
	s_and_saveexec_b32 s0, s2
	s_cbranch_execz .LBB0_108
.LBB0_117:                              ;   in Loop: Header=BB0_58 Depth=1
	.loc	1 34 55                         ; layer_norm.py:34:55
	v_cvt_f32_f16_e32 v2, v31
	s_delay_alu instid0(VALU_DEP_1) | instskip(NEXT) | instid1(VALU_DEP_1)
	.loc	1 35 21                         ; layer_norm.py:35:21
	v_sub_f32_e32 v2, v2, v10
	.loc	1 35 29 is_stmt 0               ; layer_norm.py:35:29
	v_mul_f32_e32 v2, v11, v2
	s_delay_alu instid0(VALU_DEP_1)
	.loc	1 37 27 is_stmt 1               ; layer_norm.py:37:27
	v_fma_mixlo_f16 v2, v17, v2, v24
	global_store_b16 v[0:1], v2, off offset:768
	s_wait_alu depctr_sa_sdst(0)
	s_or_b32 exec_lo, exec_lo, s0
	s_and_saveexec_b32 s0, s3
	s_cbranch_execz .LBB0_109
.LBB0_118:                              ;   in Loop: Header=BB0_58 Depth=1
	.loc	1 34 55                         ; layer_norm.py:34:55
	v_cvt_f32_f16_e32 v2, v28
	s_delay_alu instid0(VALU_DEP_1) | instskip(NEXT) | instid1(VALU_DEP_1)
	.loc	1 35 21                         ; layer_norm.py:35:21
	v_sub_f32_e32 v2, v2, v10
	.loc	1 35 29 is_stmt 0               ; layer_norm.py:35:29
	v_mul_f32_e32 v2, v11, v2
	s_delay_alu instid0(VALU_DEP_1)
	.loc	1 37 27 is_stmt 1               ; layer_norm.py:37:27
	v_fma_mixlo_f16 v2, v14, v2, v7
	global_store_b16 v[0:1], v2, off offset:1024
	s_wait_alu depctr_sa_sdst(0)
	s_or_b32 exec_lo, exec_lo, s0
	s_and_saveexec_b32 s0, s4
	s_cbranch_execz .LBB0_110
.LBB0_119:                              ;   in Loop: Header=BB0_58 Depth=1
	.loc	1 34 55                         ; layer_norm.py:34:55
	v_cvt_f32_f16_e32 v2, v30
	s_delay_alu instid0(VALU_DEP_1) | instskip(NEXT) | instid1(VALU_DEP_1)
	.loc	1 35 21                         ; layer_norm.py:35:21
	v_sub_f32_e32 v2, v2, v10
	.loc	1 35 29 is_stmt 0               ; layer_norm.py:35:29
	v_mul_f32_e32 v2, v11, v2
	s_delay_alu instid0(VALU_DEP_1)
	.loc	1 37 27 is_stmt 1               ; layer_norm.py:37:27
	v_fma_mixlo_f16 v2, v18, v2, v23
	global_store_b16 v[0:1], v2, off offset:1280
	s_wait_alu depctr_sa_sdst(0)
	s_or_b32 exec_lo, exec_lo, s0
	s_and_saveexec_b32 s0, s5
	s_cbranch_execz .LBB0_111
.LBB0_120:                              ;   in Loop: Header=BB0_58 Depth=1
	.loc	1 34 55                         ; layer_norm.py:34:55
	v_cvt_f32_f16_e32 v2, v27
	s_delay_alu instid0(VALU_DEP_1) | instskip(NEXT) | instid1(VALU_DEP_1)
	.loc	1 35 21                         ; layer_norm.py:35:21
	v_sub_f32_e32 v2, v2, v10
	.loc	1 35 29 is_stmt 0               ; layer_norm.py:35:29
	v_mul_f32_e32 v2, v11, v2
	s_delay_alu instid0(VALU_DEP_1)
	.loc	1 37 27 is_stmt 1               ; layer_norm.py:37:27
	v_fma_mixlo_f16 v2, v15, v2, v6
	global_store_b16 v[0:1], v2, off offset:1536
	s_wait_alu depctr_sa_sdst(0)
	s_or_b32 exec_lo, exec_lo, s0
	s_and_saveexec_b32 s0, s6
	s_cbranch_execz .LBB0_57
.LBB0_121:                              ;   in Loop: Header=BB0_58 Depth=1
	.loc	1 34 55                         ; layer_norm.py:34:55
	v_cvt_f32_f16_e32 v2, v29
	s_delay_alu instid0(VALU_DEP_1) | instskip(NEXT) | instid1(VALU_DEP_1)
	.loc	1 35 21                         ; layer_norm.py:35:21
	v_sub_f32_e32 v2, v2, v10
	.loc	1 35 29 is_stmt 0               ; layer_norm.py:35:29
	v_mul_f32_e32 v2, v11, v2
	s_delay_alu instid0(VALU_DEP_1)
	.loc	1 37 27 is_stmt 1               ; layer_norm.py:37:27
	v_fma_mixlo_f16 v2, v19, v2, v22
	global_store_b16 v[0:1], v2, off offset:1792
	s_branch .LBB0_57
.LBB0_122:                              ; %._crit_edge10
	.loc	1 29 4                          ; layer_norm.py:29:4
	s_endpgm
.Ltmp24:
	.section	.rodata,"a",@progbits
	.p2align	6, 0x0
	.amdhsa_kernel layer_norm_fwd_kernel
		.amdhsa_group_segment_fixed_size 0
		.amdhsa_private_segment_fixed_size 0
		.amdhsa_kernarg_size 80
		.amdhsa_user_sgpr_count 2
		.amdhsa_user_sgpr_dispatch_ptr 0
		.amdhsa_user_sgpr_queue_ptr 0
		.amdhsa_user_sgpr_kernarg_segment_ptr 1
		.amdhsa_user_sgpr_dispatch_id 0
		.amdhsa_user_sgpr_private_segment_size 0
		.amdhsa_wavefront_size32 1
		.amdhsa_uses_dynamic_stack 0
		.amdhsa_enable_private_segment 0
		.amdhsa_system_sgpr_workgroup_id_x 1
		.amdhsa_system_sgpr_workgroup_id_y 1
		.amdhsa_system_sgpr_workgroup_id_z 1
		.amdhsa_system_sgpr_workgroup_info 0
		.amdhsa_system_vgpr_workitem_id 0
		.amdhsa_next_free_vgpr 33
		.amdhsa_next_free_sgpr 31
		.amdhsa_reserve_vcc 1
		.amdhsa_float_round_mode_32 0
		.amdhsa_float_round_mode_16_64 0
		.amdhsa_float_denorm_mode_32 3
		.amdhsa_float_denorm_mode_16_64 3
		.amdhsa_fp16_overflow 0
		.amdhsa_workgroup_processor_mode 1
		.amdhsa_memory_ordered 1
		.amdhsa_forward_progress 1
		.amdhsa_inst_pref_size 35
		.amdhsa_round_robin_scheduling 0
		.amdhsa_exception_fp_ieee_invalid_op 0
		.amdhsa_exception_fp_denorm_src 0
		.amdhsa_exception_fp_ieee_div_zero 0
		.amdhsa_exception_fp_ieee_overflow 0
		.amdhsa_exception_fp_ieee_underflow 0
		.amdhsa_exception_fp_ieee_inexact 0
		.amdhsa_exception_int_div_zero 0
	.end_amdhsa_kernel
	.text
.Lfunc_end0:
	.size	layer_norm_fwd_kernel, .Lfunc_end0-layer_norm_fwd_kernel
	.cfi_endproc
                                        ; -- End function
	.set layer_norm_fwd_kernel.num_vgpr, 33
	.set layer_norm_fwd_kernel.num_agpr, 0
	.set layer_norm_fwd_kernel.numbered_sgpr, 31
	.set layer_norm_fwd_kernel.num_named_barrier, 0
	.set layer_norm_fwd_kernel.private_seg_size, 0
	.set layer_norm_fwd_kernel.uses_vcc, 1
	.set layer_norm_fwd_kernel.uses_flat_scratch, 0
	.set layer_norm_fwd_kernel.has_dyn_sized_stack, 0
	.set layer_norm_fwd_kernel.has_recursion, 0
	.set layer_norm_fwd_kernel.has_indirect_call, 0
	.section	.AMDGPU.csdata,"",@progbits
; Kernel info:
; codeLenInByte = 4428
; TotalNumSgprs: 33
; NumVgprs: 33
; ScratchSize: 0
; MemoryBound: 0
; FloatMode: 240
; IeeeMode: 1
; LDSByteSize: 0 bytes/workgroup (compile time only)
; SGPRBlocks: 0
; VGPRBlocks: 4
; NumSGPRsForWavesPerEU: 33
; NumVGPRsForWavesPerEU: 33
; Occupancy: 16
; WaveLimiterHint : 0
; COMPUTE_PGM_RSRC2:SCRATCH_EN: 0
; COMPUTE_PGM_RSRC2:USER_SGPR: 2
; COMPUTE_PGM_RSRC2:TRAP_HANDLER: 0
; COMPUTE_PGM_RSRC2:TGID_X_EN: 1
; COMPUTE_PGM_RSRC2:TGID_Y_EN: 1
; COMPUTE_PGM_RSRC2:TGID_Z_EN: 1
; COMPUTE_PGM_RSRC2:TIDIG_COMP_CNT: 0
	.text
	.p2alignl 7, 3214868480
	.fill 96, 4, 3214868480
	.section	.AMDGPU.gpr_maximums,"",@progbits
	.set amdgpu.max_num_vgpr, 0
	.set amdgpu.max_num_agpr, 0
	.set amdgpu.max_num_sgpr, 0
	.set amdgpu.max_num_named_barrier, 0
	.text
	.section	.debug_abbrev,"",@progbits
	.byte	1                               ; Abbreviation Code
	.byte	17                              ; DW_TAG_compile_unit
	.byte	1                               ; DW_CHILDREN_yes
	.byte	37                              ; DW_AT_producer
	.byte	14                              ; DW_FORM_strp
	.byte	19                              ; DW_AT_language
	.byte	5                               ; DW_FORM_data2
	.byte	3                               ; DW_AT_name
	.byte	14                              ; DW_FORM_strp
	.byte	16                              ; DW_AT_stmt_list
	.byte	23                              ; DW_FORM_sec_offset
	.byte	27                              ; DW_AT_comp_dir
	.byte	14                              ; DW_FORM_strp
	.byte	17                              ; DW_AT_low_pc
	.byte	1                               ; DW_FORM_addr
	.byte	18                              ; DW_AT_high_pc
	.byte	6                               ; DW_FORM_data4
	.byte	0                               ; EOM(1)
	.byte	0                               ; EOM(2)
	.byte	2                               ; Abbreviation Code
	.byte	46                              ; DW_TAG_subprogram
	.byte	0                               ; DW_CHILDREN_no
	.byte	3                               ; DW_AT_name
	.byte	14                              ; DW_FORM_strp
	.byte	32                              ; DW_AT_inline
	.byte	11                              ; DW_FORM_data1
	.byte	0                               ; EOM(1)
	.byte	0                               ; EOM(2)
	.byte	3                               ; Abbreviation Code
	.byte	46                              ; DW_TAG_subprogram
	.byte	1                               ; DW_CHILDREN_yes
	.byte	17                              ; DW_AT_low_pc
	.byte	1                               ; DW_FORM_addr
	.byte	18                              ; DW_AT_high_pc
	.byte	6                               ; DW_FORM_data4
	.byte	49                              ; DW_AT_abstract_origin
	.byte	19                              ; DW_FORM_ref4
	.byte	0                               ; EOM(1)
	.byte	0                               ; EOM(2)
	.byte	4                               ; Abbreviation Code
	.byte	29                              ; DW_TAG_inlined_subroutine
	.byte	1                               ; DW_CHILDREN_yes
	.byte	49                              ; DW_AT_abstract_origin
	.byte	19                              ; DW_FORM_ref4
	.byte	85                              ; DW_AT_ranges
	.byte	23                              ; DW_FORM_sec_offset
	.byte	88                              ; DW_AT_call_file
	.byte	11                              ; DW_FORM_data1
	.byte	89                              ; DW_AT_call_line
	.byte	11                              ; DW_FORM_data1
	.byte	87                              ; DW_AT_call_column
	.byte	11                              ; DW_FORM_data1
	.byte	0                               ; EOM(1)
	.byte	0                               ; EOM(2)
	.byte	5                               ; Abbreviation Code
	.byte	29                              ; DW_TAG_inlined_subroutine
	.byte	0                               ; DW_CHILDREN_no
	.byte	49                              ; DW_AT_abstract_origin
	.byte	19                              ; DW_FORM_ref4
	.byte	85                              ; DW_AT_ranges
	.byte	23                              ; DW_FORM_sec_offset
	.byte	88                              ; DW_AT_call_file
	.byte	11                              ; DW_FORM_data1
	.byte	89                              ; DW_AT_call_line
	.byte	5                               ; DW_FORM_data2
	.byte	87                              ; DW_AT_call_column
	.byte	11                              ; DW_FORM_data1
	.byte	0                               ; EOM(1)
	.byte	0                               ; EOM(2)
	;; [unrolled: 1-line block ×3, first 2 shown]
	.section	.debug_info,"",@progbits
.Lcu_begin0:
	.long	.Ldebug_info_end0-.Ldebug_info_start0 ; Length of Unit
.Ldebug_info_start0:
	.short	4                               ; DWARF version number
	.long	.debug_abbrev                   ; Offset Into Abbrev. Section
	.byte	8                               ; Address Size (in bytes)
	.byte	1                               ; Abbrev [1] 0xb:0x6c DW_TAG_compile_unit
	.long	.Linfo_string0                  ; DW_AT_producer
	.short	2                               ; DW_AT_language
	.long	.Linfo_string1                  ; DW_AT_name
	.long	.Lline_table_start0             ; DW_AT_stmt_list
	.long	.Linfo_string2                  ; DW_AT_comp_dir
	.quad	.Lfunc_begin0                   ; DW_AT_low_pc
	.long	.Lfunc_end0-.Lfunc_begin0       ; DW_AT_high_pc
	.byte	2                               ; Abbrev [2] 0x2a:0x6 DW_TAG_subprogram
	.long	.Linfo_string3                  ; DW_AT_name
	.byte	1                               ; DW_AT_inline
	.byte	3                               ; Abbrev [3] 0x30:0x46 DW_TAG_subprogram
	.quad	.Lfunc_begin0                   ; DW_AT_low_pc
	.long	.Lfunc_end0-.Lfunc_begin0       ; DW_AT_high_pc
	.long	42                              ; DW_AT_abstract_origin
	.byte	4                               ; Abbrev [4] 0x41:0x1a DW_TAG_inlined_subroutine
	.long	42                              ; DW_AT_abstract_origin
	.long	.Ldebug_ranges0                 ; DW_AT_ranges
	.byte	1                               ; DW_AT_call_file
	.byte	18                              ; DW_AT_call_line
	.byte	18                              ; DW_AT_call_column
	.byte	5                               ; Abbrev [5] 0x4d:0xd DW_TAG_inlined_subroutine
	.long	42                              ; DW_AT_abstract_origin
	.long	.Ldebug_ranges1                 ; DW_AT_ranges
	.byte	2                               ; DW_AT_call_file
	.short	293                             ; DW_AT_call_line
	.byte	36                              ; DW_AT_call_column
	.byte	0                               ; End Of Children Mark
	.byte	4                               ; Abbrev [4] 0x5b:0x1a DW_TAG_inlined_subroutine
	.long	42                              ; DW_AT_abstract_origin
	.long	.Ldebug_ranges2                 ; DW_AT_ranges
	.byte	1                               ; DW_AT_call_file
	.byte	25                              ; DW_AT_call_line
	.byte	17                              ; DW_AT_call_column
	.byte	5                               ; Abbrev [5] 0x67:0xd DW_TAG_inlined_subroutine
	.long	42                              ; DW_AT_abstract_origin
	.long	.Ldebug_ranges3                 ; DW_AT_ranges
	.byte	2                               ; DW_AT_call_file
	.short	293                             ; DW_AT_call_line
	.byte	36                              ; DW_AT_call_column
	.byte	0                               ; End Of Children Mark
	.byte	0                               ; End Of Children Mark
	;; [unrolled: 1-line block ×3, first 2 shown]
.Ldebug_info_end0:
	.section	.debug_ranges,"",@progbits
.Ldebug_ranges0:
	.quad	.Ltmp1-.Lfunc_begin0
	.quad	.Ltmp9-.Lfunc_begin0
	;; [unrolled: 1-line block ×4, first 2 shown]
	.quad	0
	.quad	0
.Ldebug_ranges1:
	.quad	.Ltmp1-.Lfunc_begin0
	.quad	.Ltmp2-.Lfunc_begin0
	;; [unrolled: 1-line block ×8, first 2 shown]
	.quad	0
	.quad	0
.Ldebug_ranges2:
	.quad	.Ltmp12-.Lfunc_begin0
	.quad	.Ltmp21-.Lfunc_begin0
	;; [unrolled: 1-line block ×4, first 2 shown]
	.quad	0
	.quad	0
.Ldebug_ranges3:
	.quad	.Ltmp13-.Lfunc_begin0
	.quad	.Ltmp14-.Lfunc_begin0
	;; [unrolled: 1-line block ×8, first 2 shown]
	.quad	0
	.quad	0
	.section	.debug_str,"MS",@progbits,1
.Linfo_string0:
	.asciz	"triton"                        ; string offset=0
.Linfo_string1:
	.asciz	"layer_norm.py"                 ; string offset=7
.Linfo_string2:
	.asciz	"/root/src/amdgpu-assembly/repos/triton-lang__triton-aot" ; string offset=21
.Linfo_string3:
	.asciz	"layer_norm_fwd_kernel"         ; string offset=77
	.section	".note.GNU-stack","",@progbits
	.amdgpu_metadata
---
amdhsa.kernels:
  - .args:
      - .address_space:  global
        .offset:         0
        .size:           8
        .value_kind:     global_buffer
      - .address_space:  global
        .offset:         8
        .size:           8
        .value_kind:     global_buffer
      - .address_space:  global
        .offset:         16
        .size:           8
        .value_kind:     global_buffer
      - .address_space:  global
        .offset:         24
        .size:           8
        .value_kind:     global_buffer
      - .address_space:  global
        .offset:         32
        .size:           8
        .value_kind:     global_buffer
      - .address_space:  global
        .offset:         40
        .size:           8
        .value_kind:     global_buffer
      - .offset:         48
        .size:           4
        .value_kind:     by_value
      - .offset:         52
        .size:           4
        .value_kind:     by_value
      - .offset:         56
        .size:           4
        .value_kind:     by_value
      - .address_space:  global
        .offset:         64
        .size:           8
        .value_kind:     global_buffer
      - .address_space:  global
        .offset:         72
        .size:           8
        .value_kind:     global_buffer
    .group_segment_fixed_size: 0
    .kernarg_segment_align: 8
    .kernarg_segment_size: 80
    .max_flat_workgroup_size: 128
    .name:           layer_norm_fwd_kernel
    .private_segment_fixed_size: 0
    .sgpr_count:     33
    .sgpr_spill_count: 0
    .symbol:         layer_norm_fwd_kernel.kd
    .uniform_work_group_size: 1
    .uses_dynamic_stack: false
    .vgpr_count:     33
    .vgpr_spill_count: 0
    .wavefront_size: 32
    .workgroup_processor_mode: 1
amdhsa.target:   amdgcn-amd-amdhsa--gfx1201
amdhsa.version:
  - 1
  - 2
...

	.end_amdgpu_metadata
	.section	.debug_line,"",@progbits
.Lline_table_start0:
